;; amdgpu-corpus repo=ROCm/rocFFT kind=compiled arch=gfx1201 opt=O3
	.text
	.amdgcn_target "amdgcn-amd-amdhsa--gfx1201"
	.amdhsa_code_object_version 6
	.protected	bluestein_single_fwd_len1344_dim1_sp_op_CI_CI ; -- Begin function bluestein_single_fwd_len1344_dim1_sp_op_CI_CI
	.globl	bluestein_single_fwd_len1344_dim1_sp_op_CI_CI
	.p2align	8
	.type	bluestein_single_fwd_len1344_dim1_sp_op_CI_CI,@function
bluestein_single_fwd_len1344_dim1_sp_op_CI_CI: ; @bluestein_single_fwd_len1344_dim1_sp_op_CI_CI
; %bb.0:
	s_load_b128 s[8:11], s[0:1], 0x28
	v_mul_u32_u24_e32 v1, 0x125, v0
	s_mov_b32 s2, exec_lo
	v_mov_b32_e32 v33, 0
	s_delay_alu instid0(VALU_DEP_2) | instskip(NEXT) | instid1(VALU_DEP_1)
	v_lshrrev_b32_e32 v1, 16, v1
	v_add_nc_u32_e32 v32, ttmp9, v1
	s_wait_kmcnt 0x0
	s_delay_alu instid0(VALU_DEP_1)
	v_cmpx_gt_u64_e64 s[8:9], v[32:33]
	s_cbranch_execz .LBB0_10
; %bb.1:
	s_load_b128 s[4:7], s[0:1], 0x18
	v_mul_lo_u16 v1, 0xe0, v1
	s_delay_alu instid0(VALU_DEP_1) | instskip(NEXT) | instid1(VALU_DEP_1)
	v_sub_nc_u16 v8, v0, v1
	v_and_b32_e32 v59, 0xffff, v8
	s_delay_alu instid0(VALU_DEP_1)
	v_lshlrev_b32_e32 v60, 3, v59
	s_wait_kmcnt 0x0
	s_load_b128 s[12:15], s[4:5], 0x0
	s_wait_kmcnt 0x0
	v_mad_co_u64_u32 v[0:1], null, s14, v32, 0
	v_mad_co_u64_u32 v[2:3], null, s12, v59, 0
	s_mul_i32 s4, s13, 0xfffff200
	s_mul_u64 s[2:3], s[12:13], 0x1500
	s_sub_co_i32 s4, s4, s12
	s_delay_alu instid0(VALU_DEP_1) | instskip(NEXT) | instid1(VALU_DEP_1)
	v_mad_co_u64_u32 v[4:5], null, s15, v32, v[1:2]
	v_mad_co_u64_u32 v[5:6], null, s13, v59, v[3:4]
	v_mov_b32_e32 v1, v4
	s_delay_alu instid0(VALU_DEP_1) | instskip(NEXT) | instid1(VALU_DEP_3)
	v_lshlrev_b64_e32 v[0:1], 3, v[0:1]
	v_mov_b32_e32 v3, v5
	s_delay_alu instid0(VALU_DEP_2) | instskip(NEXT) | instid1(VALU_DEP_2)
	v_add_co_u32 v0, vcc_lo, s10, v0
	v_lshlrev_b64_e32 v[2:3], 3, v[2:3]
	s_delay_alu instid0(VALU_DEP_4) | instskip(SKIP_1) | instid1(VALU_DEP_2)
	v_add_co_ci_u32_e32 v1, vcc_lo, s11, v1, vcc_lo
	s_load_b128 s[8:11], s[0:1], 0x0
	v_add_co_u32 v0, vcc_lo, v0, v2
	s_wait_alu 0xfffd
	s_delay_alu instid0(VALU_DEP_2) | instskip(NEXT) | instid1(VALU_DEP_2)
	v_add_co_ci_u32_e32 v1, vcc_lo, v1, v3, vcc_lo
	v_add_co_u32 v2, vcc_lo, v0, s2
	s_wait_alu 0xfffd
	s_delay_alu instid0(VALU_DEP_2) | instskip(NEXT) | instid1(VALU_DEP_1)
	v_add_co_ci_u32_e32 v3, vcc_lo, s3, v1, vcc_lo
	v_mad_co_u64_u32 v[4:5], null, 0xfffff200, s12, v[2:3]
	s_delay_alu instid0(VALU_DEP_1) | instskip(NEXT) | instid1(VALU_DEP_2)
	v_add_nc_u32_e32 v5, s4, v5
	v_add_co_u32 v6, vcc_lo, v4, s2
	s_wait_alu 0xfffd
	s_delay_alu instid0(VALU_DEP_2) | instskip(NEXT) | instid1(VALU_DEP_1)
	v_add_co_ci_u32_e32 v7, vcc_lo, s3, v5, vcc_lo
	v_mad_co_u64_u32 v[9:10], null, 0xfffff200, s12, v[6:7]
	s_delay_alu instid0(VALU_DEP_1) | instskip(NEXT) | instid1(VALU_DEP_2)
	v_add_nc_u32_e32 v10, s4, v10
	v_add_co_u32 v11, vcc_lo, v9, s2
	s_wait_alu 0xfffd
	s_delay_alu instid0(VALU_DEP_2)
	v_add_co_ci_u32_e32 v12, vcc_lo, s3, v10, vcc_lo
	s_load_b64 s[2:3], s[0:1], 0x38
	s_wait_kmcnt 0x0
	global_load_b64 v[41:42], v60, s[8:9]
	global_load_b64 v[0:1], v[0:1], off
	global_load_b64 v[35:36], v60, s[8:9] offset:5376
	global_load_b64 v[2:3], v[2:3], off
	s_clause 0x1
	global_load_b64 v[43:44], v60, s[8:9] offset:1792
	global_load_b64 v[33:34], v60, s[8:9] offset:7168
	s_clause 0x1
	global_load_b64 v[4:5], v[4:5], off
	global_load_b64 v[6:7], v[6:7], off
	global_load_b64 v[37:38], v60, s[8:9] offset:3584
	global_load_b64 v[13:14], v[9:10], off
	global_load_b64 v[39:40], v60, s[8:9] offset:8960
	global_load_b64 v[10:11], v[11:12], off
	s_load_b128 s[4:7], s[6:7], 0x0
	v_cmp_gt_u16_e32 vcc_lo, 0xc0, v8
	v_add_co_u32 v55, s0, s8, v60
	s_wait_alu 0xf1ff
	v_add_co_ci_u32_e64 v56, null, s9, 0, s0
	s_wait_loadcnt 0xa
	v_mul_f32_e32 v15, v1, v42
	s_wait_loadcnt 0x5
	v_dual_mul_f32 v12, v0, v42 :: v_dual_mul_f32 v17, v5, v44
	s_delay_alu instid0(VALU_DEP_1)
	v_fma_f32 v16, v1, v41, -v12
	v_mul_f32_e32 v12, v4, v44
	v_dual_fmac_f32 v15, v0, v41 :: v_dual_mul_f32 v0, v3, v36
	v_add_nc_u32_e32 v9, 0x1c00, v60
	s_wait_loadcnt 0x2
	v_dual_fmac_f32 v17, v4, v43 :: v_dual_mul_f32 v4, v14, v38
	v_mul_f32_e32 v1, v2, v36
	v_fmac_f32_e32 v0, v2, v35
	v_mul_f32_e32 v2, v7, v34
	v_fma_f32 v18, v5, v43, -v12
	v_fmac_f32_e32 v4, v13, v37
	v_fma_f32 v1, v3, v35, -v1
	v_mul_f32_e32 v3, v6, v34
	v_fmac_f32_e32 v2, v6, v33
	s_wait_loadcnt 0x0
	v_dual_mul_f32 v6, v11, v40 :: v_dual_mul_f32 v5, v13, v38
	v_mul_f32_e32 v12, v10, v40
	v_fma_f32 v3, v7, v33, -v3
	s_delay_alu instid0(VALU_DEP_3)
	v_fmac_f32_e32 v6, v10, v39
	v_add_nc_u32_e32 v10, 0xe00, v60
	v_fma_f32 v5, v14, v37, -v5
	v_fma_f32 v7, v11, v39, -v12
	ds_store_b64 v60, v[0:1] offset:5376
	ds_store_2addr_b64 v60, v[15:16], v[17:18] offset1:224
	ds_store_b64 v60, v[4:5] offset:3584
	ds_store_2addr_b64 v9, v[2:3], v[6:7] offset1:224
	global_wb scope:SCOPE_SE
	s_wait_dscnt 0x0
	s_wait_kmcnt 0x0
	s_barrier_signal -1
	s_barrier_wait -1
	global_inv scope:SCOPE_SE
	ds_load_2addr_b64 v[1:4], v60 offset1:224
	ds_load_2addr_b64 v[11:14], v10 offset1:224
	;; [unrolled: 1-line block ×3, first 2 shown]
	v_and_b32_e32 v7, 1, v59
	v_lshlrev_b32_e32 v61, 4, v59
	v_lshlrev_b32_e32 v0, 1, v59
	global_wb scope:SCOPE_SE
	s_wait_dscnt 0x0
	s_barrier_signal -1
	s_barrier_wait -1
	global_inv scope:SCOPE_SE
	v_sub_f32_e32 v19, v1, v13
	v_dual_sub_f32 v13, v11, v17 :: v_dual_sub_f32 v20, v2, v14
	v_dual_sub_f32 v5, v3, v15 :: v_dual_sub_f32 v14, v12, v18
	v_sub_f32_e32 v6, v4, v16
	v_lshlrev_b32_e32 v22, 3, v7
	v_fma_f32 v17, v1, 2.0, -v19
	v_fma_f32 v18, v2, 2.0, -v20
	;; [unrolled: 1-line block ×4, first 2 shown]
	v_lshlrev_b32_e32 v21, 3, v0
	v_fma_f32 v11, v11, 2.0, -v13
	v_fma_f32 v12, v12, 2.0, -v14
	ds_store_b128 v61, v[17:20]
	ds_store_b128 v61, v[3:6] offset:3584
	ds_store_b128 v21, v[11:14] offset:7168
	global_wb scope:SCOPE_SE
	s_wait_dscnt 0x0
	s_barrier_signal -1
	s_barrier_wait -1
	global_inv scope:SCOPE_SE
	global_load_b64 v[45:46], v22, s[10:11]
	ds_load_2addr_b64 v[2:5], v10 offset1:224
	ds_load_2addr_b64 v[11:14], v9 offset1:224
	v_add_nc_u32_e32 v79, 0xe0, v59
	v_and_or_b32 v6, 0x1fc, v0, v7
	v_add_nc_u32_e32 v80, 0x380, v0
	ds_load_2addr_b64 v[15:18], v60 offset1:224
	v_and_b32_e32 v19, 3, v59
	global_wb scope:SCOPE_SE
	s_wait_loadcnt_dscnt 0x0
	v_lshlrev_b32_e32 v64, 3, v6
	s_barrier_signal -1
	s_barrier_wait -1
	global_inv scope:SCOPE_SE
	v_dual_mul_f32 v6, v5, v46 :: v_dual_lshlrev_b32 v1, 1, v79
	v_mul_f32_e32 v22, v11, v46
	v_mul_f32_e32 v23, v14, v46
	v_dual_mul_f32 v24, v13, v46 :: v_dual_lshlrev_b32 v21, 3, v19
	s_delay_alu instid0(VALU_DEP_4) | instskip(SKIP_1) | instid1(VALU_DEP_2)
	v_and_or_b32 v20, 0x3fc, v1, v7
	v_and_or_b32 v7, 0x7fc, v80, v7
	v_dual_fmac_f32 v22, v12, v45 :: v_dual_lshlrev_b32 v63, 3, v20
	s_delay_alu instid0(VALU_DEP_2) | instskip(SKIP_2) | instid1(VALU_DEP_3)
	v_dual_mul_f32 v7, v4, v46 :: v_dual_lshlrev_b32 v62, 3, v7
	v_mul_f32_e32 v20, v12, v46
	v_fma_f32 v4, v4, v45, -v6
	v_fmac_f32_e32 v7, v5, v45
	s_delay_alu instid0(VALU_DEP_3) | instskip(SKIP_2) | instid1(VALU_DEP_4)
	v_fma_f32 v6, v11, v45, -v20
	v_fma_f32 v11, v13, v45, -v23
	v_fmac_f32_e32 v24, v14, v45
	v_dual_sub_f32 v4, v15, v4 :: v_dual_sub_f32 v5, v16, v7
	v_sub_f32_e32 v7, v18, v22
	s_delay_alu instid0(VALU_DEP_4)
	v_sub_f32_e32 v11, v2, v11
	v_and_b32_e32 v20, 7, v59
	v_sub_f32_e32 v6, v17, v6
	v_sub_f32_e32 v12, v3, v24
	v_fma_f32 v13, v15, 2.0, -v4
	v_fma_f32 v14, v16, 2.0, -v5
	;; [unrolled: 1-line block ×6, first 2 shown]
	ds_store_2addr_b64 v64, v[13:14], v[4:5] offset1:2
	ds_store_2addr_b64 v63, v[15:16], v[6:7] offset1:2
	;; [unrolled: 1-line block ×3, first 2 shown]
	global_wb scope:SCOPE_SE
	s_wait_dscnt 0x0
	s_barrier_signal -1
	s_barrier_wait -1
	global_inv scope:SCOPE_SE
	global_load_b64 v[47:48], v21, s[10:11] offset:16
	ds_load_2addr_b64 v[2:5], v10 offset1:224
	ds_load_2addr_b64 v[11:14], v9 offset1:224
	;; [unrolled: 1-line block ×3, first 2 shown]
	v_and_or_b32 v7, 0x3f8, v1, v19
	v_and_or_b32 v6, 0x1f8, v0, v19
	;; [unrolled: 1-line block ×3, first 2 shown]
	global_wb scope:SCOPE_SE
	s_wait_loadcnt_dscnt 0x0
	s_barrier_signal -1
	v_lshlrev_b32_e32 v66, 3, v7
	v_lshlrev_b32_e32 v67, 3, v6
	;; [unrolled: 1-line block ×3, first 2 shown]
	s_barrier_wait -1
	global_inv scope:SCOPE_SE
	v_mul_f32_e32 v6, v5, v48
	v_mul_f32_e32 v7, v4, v48
	v_mul_f32_e32 v19, v12, v48
	v_mul_f32_e32 v22, v11, v48
	v_lshlrev_b32_e32 v21, 3, v20
	v_fma_f32 v4, v4, v47, -v6
	v_fmac_f32_e32 v7, v5, v47
	s_delay_alu instid0(VALU_DEP_4) | instskip(SKIP_2) | instid1(VALU_DEP_4)
	v_dual_mul_f32 v23, v14, v48 :: v_dual_fmac_f32 v22, v12, v47
	v_mul_f32_e32 v24, v13, v48
	v_fma_f32 v6, v11, v47, -v19
	v_sub_f32_e32 v5, v16, v7
	s_delay_alu instid0(VALU_DEP_4) | instskip(SKIP_2) | instid1(VALU_DEP_3)
	v_fma_f32 v11, v13, v47, -v23
	v_dual_sub_f32 v4, v15, v4 :: v_dual_sub_f32 v7, v18, v22
	v_fmac_f32_e32 v24, v14, v47
	v_dual_sub_f32 v6, v17, v6 :: v_dual_sub_f32 v11, v2, v11
	s_delay_alu instid0(VALU_DEP_3) | instskip(SKIP_1) | instid1(VALU_DEP_4)
	v_fma_f32 v13, v15, 2.0, -v4
	v_fma_f32 v14, v16, 2.0, -v5
	v_dual_sub_f32 v12, v3, v24 :: v_dual_and_b32 v19, 15, v59
	s_delay_alu instid0(VALU_DEP_4) | instskip(SKIP_2) | instid1(VALU_DEP_4)
	v_fma_f32 v15, v17, 2.0, -v6
	v_fma_f32 v16, v18, 2.0, -v7
	;; [unrolled: 1-line block ×4, first 2 shown]
	ds_store_2addr_b64 v67, v[13:14], v[4:5] offset1:4
	ds_store_2addr_b64 v66, v[15:16], v[6:7] offset1:4
	;; [unrolled: 1-line block ×3, first 2 shown]
	global_wb scope:SCOPE_SE
	s_wait_dscnt 0x0
	s_barrier_signal -1
	s_barrier_wait -1
	global_inv scope:SCOPE_SE
	global_load_b64 v[49:50], v21, s[10:11] offset:48
	ds_load_2addr_b64 v[2:5], v10 offset1:224
	ds_load_2addr_b64 v[11:14], v9 offset1:224
	;; [unrolled: 1-line block ×3, first 2 shown]
	v_and_or_b32 v7, 0x3f0, v1, v20
	v_and_or_b32 v6, 0x1f0, v0, v20
	;; [unrolled: 1-line block ×3, first 2 shown]
	v_lshlrev_b32_e32 v21, 3, v19
	global_wb scope:SCOPE_SE
	s_wait_loadcnt_dscnt 0x0
	v_lshlrev_b32_e32 v69, 3, v7
	s_barrier_signal -1
	v_lshlrev_b32_e32 v68, 3, v20
	s_barrier_wait -1
	global_inv scope:SCOPE_SE
	v_mul_f32_e32 v23, v14, v50
	v_mul_f32_e32 v7, v4, v50
	v_lshlrev_b32_e32 v70, 3, v6
	v_mul_f32_e32 v6, v5, v50
	s_delay_alu instid0(VALU_DEP_3) | instskip(SKIP_1) | instid1(VALU_DEP_3)
	v_dual_mul_f32 v20, v12, v50 :: v_dual_fmac_f32 v7, v5, v49
	v_mul_f32_e32 v22, v11, v50
	v_fma_f32 v4, v4, v49, -v6
	s_delay_alu instid0(VALU_DEP_3) | instskip(SKIP_3) | instid1(VALU_DEP_3)
	v_fma_f32 v6, v11, v49, -v20
	v_fma_f32 v11, v13, v49, -v23
	v_dual_sub_f32 v5, v16, v7 :: v_dual_mul_f32 v24, v13, v50
	v_and_b32_e32 v20, 31, v59
	v_dual_fmac_f32 v22, v12, v49 :: v_dual_sub_f32 v11, v2, v11
	v_sub_f32_e32 v4, v15, v4
	s_delay_alu instid0(VALU_DEP_4) | instskip(SKIP_1) | instid1(VALU_DEP_4)
	v_fmac_f32_e32 v24, v14, v49
	v_sub_f32_e32 v6, v17, v6
	v_sub_f32_e32 v7, v18, v22
	v_fma_f32 v14, v16, 2.0, -v5
	v_fma_f32 v13, v15, 2.0, -v4
	v_sub_f32_e32 v12, v3, v24
	v_fma_f32 v15, v17, 2.0, -v6
	v_fma_f32 v16, v18, 2.0, -v7
	;; [unrolled: 1-line block ×3, first 2 shown]
	s_delay_alu instid0(VALU_DEP_4)
	v_fma_f32 v3, v3, 2.0, -v12
	ds_store_2addr_b64 v70, v[13:14], v[4:5] offset1:8
	ds_store_2addr_b64 v69, v[15:16], v[6:7] offset1:8
	;; [unrolled: 1-line block ×3, first 2 shown]
	global_wb scope:SCOPE_SE
	s_wait_dscnt 0x0
	s_barrier_signal -1
	s_barrier_wait -1
	global_inv scope:SCOPE_SE
	global_load_b64 v[51:52], v21, s[10:11] offset:112
	ds_load_2addr_b64 v[2:5], v10 offset1:224
	ds_load_2addr_b64 v[11:14], v9 offset1:224
	;; [unrolled: 1-line block ×3, first 2 shown]
	v_and_or_b32 v7, 0x3e0, v1, v19
	v_and_or_b32 v6, 0x1e0, v0, v19
	v_and_or_b32 v19, 0x7e0, v80, v19
	global_wb scope:SCOPE_SE
	s_wait_loadcnt_dscnt 0x0
	s_barrier_signal -1
	v_lshlrev_b32_e32 v72, 3, v7
	v_lshlrev_b32_e32 v73, 3, v6
	;; [unrolled: 1-line block ×3, first 2 shown]
	s_barrier_wait -1
	global_inv scope:SCOPE_SE
	v_mul_f32_e32 v19, v12, v52
	v_mul_f32_e32 v7, v4, v52
	;; [unrolled: 1-line block ×4, first 2 shown]
	v_and_or_b32 v1, 0x3c0, v1, v20
	v_lshlrev_b32_e32 v21, 3, v20
	v_fmac_f32_e32 v7, v5, v51
	v_mul_f32_e32 v6, v5, v52
	v_and_or_b32 v0, 0x1c0, v0, v20
	v_lshlrev_b32_e32 v77, 3, v1
	s_delay_alu instid0(VALU_DEP_4) | instskip(NEXT) | instid1(VALU_DEP_4)
	v_sub_f32_e32 v5, v16, v7
	v_fma_f32 v4, v4, v51, -v6
	v_fma_f32 v6, v11, v51, -v19
	;; [unrolled: 1-line block ×3, first 2 shown]
	s_delay_alu instid0(VALU_DEP_3) | instskip(NEXT) | instid1(VALU_DEP_2)
	v_dual_sub_f32 v4, v15, v4 :: v_dual_and_b32 v19, 63, v59
	v_dual_sub_f32 v6, v17, v6 :: v_dual_sub_f32 v11, v2, v11
	v_fmac_f32_e32 v22, v12, v51
	v_mul_f32_e32 v24, v13, v52
	s_delay_alu instid0(VALU_DEP_4) | instskip(NEXT) | instid1(VALU_DEP_4)
	v_fma_f32 v13, v15, 2.0, -v4
	v_fma_f32 v15, v17, 2.0, -v6
	;; [unrolled: 1-line block ×3, first 2 shown]
	v_sub_f32_e32 v7, v18, v22
	v_fmac_f32_e32 v24, v14, v51
	v_fma_f32 v14, v16, 2.0, -v5
	s_delay_alu instid0(VALU_DEP_3) | instskip(NEXT) | instid1(VALU_DEP_3)
	v_fma_f32 v16, v18, 2.0, -v7
	v_sub_f32_e32 v12, v3, v24
	s_delay_alu instid0(VALU_DEP_1)
	v_fma_f32 v3, v3, 2.0, -v12
	ds_store_2addr_b64 v73, v[13:14], v[4:5] offset1:16
	ds_store_2addr_b64 v72, v[15:16], v[6:7] offset1:16
	;; [unrolled: 1-line block ×3, first 2 shown]
	global_wb scope:SCOPE_SE
	s_wait_dscnt 0x0
	s_barrier_signal -1
	s_barrier_wait -1
	global_inv scope:SCOPE_SE
	global_load_b64 v[53:54], v21, s[10:11] offset:240
	ds_load_2addr_b64 v[2:5], v10 offset1:224
	ds_load_2addr_b64 v[11:14], v9 offset1:224
	;; [unrolled: 1-line block ×3, first 2 shown]
	v_and_or_b32 v6, 0x7c0, v80, v20
	v_lshlrev_b32_e32 v20, 4, v19
	v_lshlrev_b32_e32 v78, 3, v0
	v_and_b32_e32 v21, 63, v79
	global_wb scope:SCOPE_SE
	s_wait_loadcnt_dscnt 0x0
	s_barrier_signal -1
	s_barrier_wait -1
	global_inv scope:SCOPE_SE
	v_mul_f32_e32 v23, v14, v54
	v_mul_f32_e32 v1, v4, v54
	v_lshlrev_b32_e32 v76, 3, v6
	v_mul_f32_e32 v7, v11, v54
	v_mul_f32_e32 v0, v5, v54
	s_delay_alu instid0(VALU_DEP_4) | instskip(NEXT) | instid1(VALU_DEP_3)
	v_fmac_f32_e32 v1, v5, v53
	v_dual_mul_f32 v24, v13, v54 :: v_dual_fmac_f32 v7, v12, v53
	s_delay_alu instid0(VALU_DEP_3) | instskip(SKIP_1) | instid1(VALU_DEP_4)
	v_fma_f32 v0, v4, v53, -v0
	v_lshlrev_b32_e32 v22, 4, v21
	v_sub_f32_e32 v1, v16, v1
	s_delay_alu instid0(VALU_DEP_4) | instskip(SKIP_2) | instid1(VALU_DEP_4)
	v_fmac_f32_e32 v24, v14, v53
	v_dual_mul_f32 v6, v12, v54 :: v_dual_sub_f32 v5, v18, v7
	v_sub_f32_e32 v0, v15, v0
	v_fma_f32 v12, v16, 2.0, -v1
	s_delay_alu instid0(VALU_DEP_4) | instskip(NEXT) | instid1(VALU_DEP_4)
	v_sub_f32_e32 v7, v3, v24
	v_fma_f32 v4, v11, v53, -v6
	v_fma_f32 v6, v13, v53, -v23
	v_fma_f32 v11, v15, 2.0, -v0
	v_fma_f32 v14, v18, 2.0, -v5
	;; [unrolled: 1-line block ×3, first 2 shown]
	v_sub_f32_e32 v4, v17, v4
	v_sub_f32_e32 v6, v2, v6
	v_lshrrev_b32_e32 v18, 6, v59
	s_delay_alu instid0(VALU_DEP_3) | instskip(NEXT) | instid1(VALU_DEP_3)
	v_fma_f32 v13, v17, 2.0, -v4
	v_fma_f32 v2, v2, 2.0, -v6
	ds_store_2addr_b64 v78, v[11:12], v[0:1] offset1:32
	ds_store_2addr_b64 v77, v[13:14], v[4:5] offset1:32
	;; [unrolled: 1-line block ×3, first 2 shown]
	global_wb scope:SCOPE_SE
	s_wait_dscnt 0x0
	s_barrier_signal -1
	s_barrier_wait -1
	global_inv scope:SCOPE_SE
	s_clause 0x1
	global_load_b128 v[4:7], v20, s[10:11] offset:496
	global_load_b128 v[0:3], v22, s[10:11] offset:496
	ds_load_2addr_b64 v[10:13], v10 offset1:224
	ds_load_2addr_b64 v[14:17], v9 offset1:224
	v_lshrrev_b32_e32 v20, 6, v79
	v_mul_u32_u24_e32 v9, 0xc0, v18
	ds_load_2addr_b64 v[24:27], v60 offset1:224
	global_wb scope:SCOPE_SE
	s_wait_loadcnt_dscnt 0x0
	s_barrier_signal -1
	v_mul_u32_u24_e32 v18, 0xc0, v20
	v_or_b32_e32 v8, v9, v19
	s_barrier_wait -1
	global_inv scope:SCOPE_SE
	v_or_b32_e32 v9, v18, v21
	v_lshlrev_b32_e32 v75, 3, v8
	s_delay_alu instid0(VALU_DEP_2) | instskip(SKIP_4) | instid1(VALU_DEP_4)
	v_lshlrev_b32_e32 v74, 3, v9
	v_mul_f32_e32 v9, v10, v5
	v_mul_f32_e32 v23, v16, v3
	;; [unrolled: 1-line block ×3, first 2 shown]
	v_dual_mul_f32 v19, v14, v7 :: v_dual_mul_f32 v20, v13, v1
	v_fmac_f32_e32 v9, v11, v4
	v_mul_f32_e32 v21, v12, v1
	v_mul_f32_e32 v8, v11, v5
	s_delay_alu instid0(VALU_DEP_4) | instskip(SKIP_1) | instid1(VALU_DEP_4)
	v_dual_mul_f32 v22, v17, v3 :: v_dual_fmac_f32 v19, v15, v6
	v_fma_f32 v11, v12, v0, -v20
	v_fmac_f32_e32 v21, v13, v0
	s_delay_alu instid0(VALU_DEP_4) | instskip(NEXT) | instid1(VALU_DEP_4)
	v_fma_f32 v8, v10, v4, -v8
	v_fma_f32 v12, v16, v2, -v22
	v_fmac_f32_e32 v23, v17, v2
	v_fma_f32 v10, v14, v6, -v18
	v_sub_f32_e32 v15, v9, v19
	v_dual_add_f32 v13, v24, v8 :: v_dual_add_f32 v16, v25, v9
	s_delay_alu instid0(VALU_DEP_3)
	v_dual_add_f32 v9, v9, v19 :: v_dual_add_f32 v14, v8, v10
	v_dual_add_f32 v17, v26, v11 :: v_dual_add_f32 v18, v11, v12
	v_dual_add_f32 v58, v21, v23 :: v_dual_sub_f32 v11, v11, v12
	v_dual_sub_f32 v8, v8, v10 :: v_dual_sub_f32 v57, v21, v23
	v_add_f32_e32 v22, v27, v21
	v_fma_f32 v28, -0.5, v14, v24
	v_fma_f32 v29, -0.5, v9, v25
	;; [unrolled: 1-line block ×3, first 2 shown]
	v_fmac_f32_e32 v27, -0.5, v58
	v_dual_add_f32 v20, v13, v10 :: v_dual_add_f32 v21, v16, v19
	v_dual_add_f32 v30, v17, v12 :: v_dual_add_f32 v31, v22, v23
	v_fmamk_f32 v22, v15, 0x3f5db3d7, v28
	v_dual_fmac_f32 v28, 0xbf5db3d7, v15 :: v_dual_fmamk_f32 v23, v8, 0xbf5db3d7, v29
	v_dual_fmac_f32 v29, 0x3f5db3d7, v8 :: v_dual_fmamk_f32 v24, v57, 0x3f5db3d7, v26
	;; [unrolled: 1-line block ×3, first 2 shown]
	v_fmac_f32_e32 v27, 0x3f5db3d7, v11
	ds_store_2addr_stride64_b64 v75, v[20:21], v[22:23] offset1:1
	ds_store_b64 v75, v[28:29] offset:1024
	ds_store_2addr_stride64_b64 v74, v[30:31], v[24:25] offset1:1
	ds_store_b64 v74, v[26:27] offset:1024
	global_wb scope:SCOPE_SE
	s_wait_dscnt 0x0
	s_barrier_signal -1
	s_barrier_wait -1
	global_inv scope:SCOPE_SE
                                        ; implicit-def: $vgpr57
	s_and_saveexec_b32 s0, vcc_lo
	s_cbranch_execz .LBB0_3
; %bb.2:
	ds_load_2addr_stride64_b64 v[20:23], v60 offset1:3
	ds_load_2addr_stride64_b64 v[28:31], v60 offset0:6 offset1:9
	ds_load_2addr_stride64_b64 v[24:27], v60 offset0:12 offset1:15
	ds_load_b64 v[57:58], v60 offset:9216
.LBB0_3:
	s_wait_alu 0xfffe
	s_or_b32 exec_lo, exec_lo, s0
	v_add_nc_u32_e32 v8, 0xffffff40, v59
	s_delay_alu instid0(VALU_DEP_1) | instskip(NEXT) | instid1(VALU_DEP_1)
	v_cndmask_b32_e32 v8, v8, v59, vcc_lo
	v_mul_i32_i24_e32 v9, 48, v8
	v_mul_hi_i32_i24_e32 v8, 48, v8
	s_delay_alu instid0(VALU_DEP_2) | instskip(SKIP_1) | instid1(VALU_DEP_2)
	v_add_co_u32 v16, s0, s10, v9
	s_wait_alu 0xf1ff
	v_add_co_ci_u32_e64 v17, s0, s11, v8, s0
	s_clause 0x2
	global_load_b128 v[12:15], v[16:17], off offset:1520
	global_load_b128 v[8:11], v[16:17], off offset:1536
	;; [unrolled: 1-line block ×3, first 2 shown]
	s_wait_loadcnt_dscnt 0x203
	v_mul_f32_e32 v81, v23, v13
	s_wait_loadcnt_dscnt 0x102
	v_mul_f32_e32 v85, v31, v9
	v_dual_mul_f32 v82, v22, v13 :: v_dual_mul_f32 v83, v29, v15
	s_wait_loadcnt_dscnt 0x1
	v_dual_mul_f32 v84, v28, v15 :: v_dual_mul_f32 v89, v27, v17
	v_dual_mul_f32 v86, v30, v9 :: v_dual_mul_f32 v87, v25, v11
	s_wait_dscnt 0x0
	v_dual_mul_f32 v91, v58, v19 :: v_dual_fmac_f32 v82, v23, v12
	v_fma_f32 v22, v22, v12, -v81
	v_fma_f32 v23, v28, v14, -v83
	v_fmac_f32_e32 v84, v29, v14
	v_fmac_f32_e32 v86, v31, v8
	v_mul_f32_e32 v90, v26, v17
	v_fma_f32 v28, v57, v18, -v91
	v_mul_f32_e32 v88, v24, v11
	v_fma_f32 v30, v30, v8, -v85
	v_fma_f32 v24, v24, v10, -v87
	v_fmac_f32_e32 v90, v27, v16
	s_delay_alu instid0(VALU_DEP_4) | instskip(SKIP_1) | instid1(VALU_DEP_1)
	v_dual_add_f32 v27, v22, v28 :: v_dual_fmac_f32 v88, v25, v10
	v_fma_f32 v25, v26, v16, -v89
	v_dual_mul_f32 v92, v57, v19 :: v_dual_add_f32 v29, v23, v25
	s_delay_alu instid0(VALU_DEP_1) | instskip(SKIP_1) | instid1(VALU_DEP_2)
	v_fmac_f32_e32 v92, v58, v18
	v_sub_f32_e32 v58, v22, v28
	v_add_f32_e32 v57, v82, v92
	v_add_f32_e32 v81, v84, v90
	s_delay_alu instid0(VALU_DEP_1) | instskip(SKIP_3) | instid1(VALU_DEP_1)
	v_dual_add_f32 v31, v81, v57 :: v_dual_add_f32 v22, v30, v24
	v_sub_f32_e32 v24, v24, v30
	v_sub_f32_e32 v26, v82, v92
	v_dual_sub_f32 v82, v23, v25 :: v_dual_add_f32 v23, v86, v88
	v_sub_f32_e32 v87, v24, v82
	s_delay_alu instid0(VALU_DEP_2) | instskip(SKIP_3) | instid1(VALU_DEP_4)
	v_sub_f32_e32 v85, v57, v23
	v_sub_f32_e32 v95, v23, v81
	;; [unrolled: 1-line block ×3, first 2 shown]
	v_dual_sub_f32 v28, v84, v90 :: v_dual_add_f32 v23, v23, v31
	v_dual_mul_f32 v92, 0x3f4a47b2, v85 :: v_dual_sub_f32 v83, v27, v22
	s_delay_alu instid0(VALU_DEP_2) | instskip(SKIP_1) | instid1(VALU_DEP_3)
	v_add_f32_e32 v88, v25, v28
	v_dual_sub_f32 v84, v25, v28 :: v_dual_sub_f32 v25, v26, v25
	v_mul_f32_e32 v90, 0x3f4a47b2, v83
	v_add_f32_e32 v21, v21, v23
	s_delay_alu instid0(VALU_DEP_3)
	v_mul_f32_e32 v89, 0x3eae86e6, v25
	v_dual_fmamk_f32 v25, v95, 0x3d64c772, v92 :: v_dual_add_f32 v30, v29, v27
	v_add_f32_e32 v91, v88, v26
	v_add_f32_e32 v86, v24, v82
	v_sub_f32_e32 v24, v58, v24
	v_sub_f32_e32 v94, v22, v29
	v_add_f32_e32 v22, v22, v30
	v_dual_fmamk_f32 v88, v23, 0xbf955555, v21 :: v_dual_lshlrev_b32 v23, 4, v79
	s_delay_alu instid0(VALU_DEP_2) | instskip(NEXT) | instid1(VALU_DEP_1)
	v_add_f32_e32 v20, v20, v22
	v_fmamk_f32 v85, v22, 0xbf955555, v20
	v_fmamk_f32 v31, v84, 0xbf08b237, v89
	v_mul_f32_e32 v93, 0x3eae86e6, v24
	v_fmamk_f32 v24, v94, 0x3d64c772, v90
	v_add_f32_e32 v96, v86, v58
	s_delay_alu instid0(VALU_DEP_4) | instskip(NEXT) | instid1(VALU_DEP_3)
	v_dual_add_f32 v86, v25, v88 :: v_dual_fmac_f32 v31, 0x3ee1c552, v91
	v_dual_fmamk_f32 v30, v87, 0xbf08b237, v93 :: v_dual_add_f32 v83, v24, v85
	v_lshlrev_b32_e32 v22, 3, v80
	s_delay_alu instid0(VALU_DEP_2) | instskip(NEXT) | instid1(VALU_DEP_1)
	v_fmac_f32_e32 v30, 0x3ee1c552, v96
	v_dual_sub_f32 v24, v83, v31 :: v_dual_add_f32 v25, v30, v86
	s_and_saveexec_b32 s0, vcc_lo
	s_cbranch_execz .LBB0_5
; %bb.4:
	v_dual_mul_f32 v79, 0x3d64c772, v94 :: v_dual_mul_f32 v80, 0x3d64c772, v95
	v_dual_mul_f32 v94, 0x3ee1c552, v96 :: v_dual_sub_f32 v57, v81, v57
	v_dual_sub_f32 v58, v82, v58 :: v_dual_sub_f32 v27, v29, v27
	v_dual_mul_f32 v29, 0x3ee1c552, v91 :: v_dual_sub_f32 v26, v28, v26
	v_dual_mul_f32 v81, 0xbf08b237, v87 :: v_dual_mul_f32 v28, 0xbf08b237, v84
	s_delay_alu instid0(VALU_DEP_3)
	v_fma_f32 v82, 0xbf5ff5aa, v58, -v93
	v_fma_f32 v87, 0xbf3bfb3b, v57, -v92
	;; [unrolled: 1-line block ×8, first 2 shown]
	s_delay_alu instid0(VALU_DEP_4) | instskip(SKIP_2) | instid1(VALU_DEP_4)
	v_dual_add_f32 v82, v94, v82 :: v_dual_add_f32 v57, v57, v88
	v_dual_add_f32 v84, v87, v88 :: v_dual_add_f32 v87, v90, v85
	v_add_f32_e32 v28, v29, v89
	v_dual_add_f32 v58, v94, v58 :: v_dual_add_f32 v85, v27, v85
	v_dual_add_f32 v88, v29, v26 :: v_dual_add_f32 v81, v31, v83
	s_delay_alu instid0(VALU_DEP_4) | instskip(NEXT) | instid1(VALU_DEP_4)
	v_dual_add_f32 v27, v82, v84 :: v_dual_sub_f32 v80, v84, v82
	v_dual_sub_f32 v82, v86, v30 :: v_dual_add_f32 v79, v28, v87
	s_delay_alu instid0(VALU_DEP_4) | instskip(NEXT) | instid1(VALU_DEP_4)
	v_dual_sub_f32 v26, v87, v28 :: v_dual_sub_f32 v29, v57, v58
	v_dual_add_f32 v58, v58, v57 :: v_dual_sub_f32 v57, v85, v88
	v_add_f32_e32 v28, v88, v85
	ds_store_2addr_stride64_b64 v60, v[20:21], v[81:82] offset1:3
	ds_store_2addr_stride64_b64 v60, v[79:80], v[57:58] offset0:6 offset1:9
	ds_store_2addr_stride64_b64 v60, v[28:29], v[26:27] offset0:12 offset1:15
	ds_store_b64 v60, v[24:25] offset:9216
.LBB0_5:
	s_wait_alu 0xfffe
	s_or_b32 exec_lo, exec_lo, s0
	global_wb scope:SCOPE_SE
	s_wait_dscnt 0x0
	s_barrier_signal -1
	s_barrier_wait -1
	global_inv scope:SCOPE_SE
	global_load_b64 v[20:21], v[55:56], off offset:10752
	s_add_nc_u64 s[0:1], s[8:9], 0x2a00
	s_clause 0x4
	global_load_b64 v[30:31], v60, s[0:1] offset:1792
	global_load_b64 v[83:84], v60, s[0:1] offset:5376
	;; [unrolled: 1-line block ×5, first 2 shown]
	ds_load_2addr_b64 v[26:29], v60 offset1:224
	v_add_nc_u32_e32 v91, 0x1500, v60
	s_wait_loadcnt_dscnt 0x500
	v_mul_f32_e32 v55, v27, v21
	v_dual_mul_f32 v56, v26, v21 :: v_dual_add_nc_u32 v21, 0xe00, v60
	s_delay_alu instid0(VALU_DEP_2) | instskip(SKIP_1) | instid1(VALU_DEP_2)
	v_fma_f32 v55, v26, v20, -v55
	s_wait_loadcnt 0x4
	v_dual_fmac_f32 v56, v27, v20 :: v_dual_mul_f32 v27, v28, v31
	v_add_nc_u32_e32 v20, 0x1c00, v60
	v_mul_f32_e32 v26, v29, v31
	v_add_nc_u32_e32 v92, 0x700, v60
	ds_store_b64 v60, v[55:56]
	v_fmac_f32_e32 v27, v29, v30
	ds_load_2addr_b64 v[55:58], v21 offset1:224
	ds_load_2addr_b64 v[79:82], v20 offset1:224
	v_fma_f32 v26, v28, v30, -v26
	s_wait_loadcnt_dscnt 0x200
	v_dual_mul_f32 v28, v58, v84 :: v_dual_mul_f32 v31, v79, v86
	v_dual_mul_f32 v29, v57, v84 :: v_dual_mul_f32 v30, v80, v86
	s_wait_loadcnt 0x1
	v_mul_f32_e32 v93, v56, v88
	v_mul_f32_e32 v84, v55, v88
	s_wait_loadcnt 0x0
	v_mul_f32_e32 v88, v82, v90
	v_dual_fmac_f32 v29, v58, v83 :: v_dual_mul_f32 v86, v81, v90
	v_fmac_f32_e32 v31, v80, v85
	v_fma_f32 v28, v57, v83, -v28
	v_fma_f32 v30, v79, v85, -v30
	;; [unrolled: 1-line block ×3, first 2 shown]
	v_fmac_f32_e32 v84, v56, v87
	v_fma_f32 v85, v81, v89, -v88
	v_fmac_f32_e32 v86, v82, v89
	ds_store_2addr_b64 v91, v[28:29], v[30:31] offset1:224
	ds_store_2addr_b64 v92, v[26:27], v[83:84] offset1:224
	ds_store_b64 v60, v[85:86] offset:8960
	global_wb scope:SCOPE_SE
	s_wait_dscnt 0x0
	s_barrier_signal -1
	s_barrier_wait -1
	global_inv scope:SCOPE_SE
	ds_load_2addr_b64 v[26:29], v60 offset1:224
	ds_load_2addr_b64 v[55:58], v21 offset1:224
	;; [unrolled: 1-line block ×3, first 2 shown]
	global_wb scope:SCOPE_SE
	s_wait_dscnt 0x0
	s_barrier_signal -1
	s_barrier_wait -1
	global_inv scope:SCOPE_SE
	v_sub_f32_e32 v83, v26, v57
	v_dual_sub_f32 v31, v29, v80 :: v_dual_sub_f32 v84, v27, v58
	v_dual_sub_f32 v30, v28, v79 :: v_dual_sub_f32 v57, v55, v81
	v_sub_f32_e32 v58, v56, v82
	s_delay_alu instid0(VALU_DEP_4) | instskip(NEXT) | instid1(VALU_DEP_4)
	v_fma_f32 v81, v26, 2.0, -v83
	v_fma_f32 v82, v27, 2.0, -v84
	s_delay_alu instid0(VALU_DEP_4)
	v_fma_f32 v28, v28, 2.0, -v30
	v_fma_f32 v29, v29, 2.0, -v31
	;; [unrolled: 1-line block ×4, first 2 shown]
	ds_store_b128 v61, v[81:84]
	ds_store_b128 v23, v[28:31]
	;; [unrolled: 1-line block ×3, first 2 shown]
	global_wb scope:SCOPE_SE
	s_wait_dscnt 0x0
	s_barrier_signal -1
	s_barrier_wait -1
	global_inv scope:SCOPE_SE
	ds_load_2addr_b64 v[26:29], v21 offset1:224
	ds_load_2addr_b64 v[55:58], v20 offset1:224
	;; [unrolled: 1-line block ×3, first 2 shown]
	global_wb scope:SCOPE_SE
	s_wait_dscnt 0x0
	s_barrier_signal -1
	s_barrier_wait -1
	global_inv scope:SCOPE_SE
	v_mul_f32_e32 v23, v46, v28
	v_mul_f32_e32 v31, v46, v55
	s_delay_alu instid0(VALU_DEP_2) | instskip(SKIP_1) | instid1(VALU_DEP_3)
	v_fma_f32 v23, v45, v29, -v23
	v_mul_f32_e32 v22, v46, v29
	v_fma_f32 v29, v45, v56, -v31
	s_delay_alu instid0(VALU_DEP_3) | instskip(NEXT) | instid1(VALU_DEP_3)
	v_sub_f32_e32 v23, v80, v23
	v_dual_mul_f32 v61, v46, v58 :: v_dual_fmac_f32 v22, v45, v28
	v_mul_f32_e32 v30, v46, v56
	v_mul_f32_e32 v46, v46, v57
	v_sub_f32_e32 v29, v82, v29
	s_delay_alu instid0(VALU_DEP_4) | instskip(NEXT) | instid1(VALU_DEP_4)
	v_dual_fmac_f32 v61, v45, v57 :: v_dual_sub_f32 v22, v79, v22
	v_fmac_f32_e32 v30, v45, v55
	s_delay_alu instid0(VALU_DEP_4)
	v_fma_f32 v31, v45, v58, -v46
	v_fma_f32 v46, v80, 2.0, -v23
	v_fma_f32 v56, v82, 2.0, -v29
	;; [unrolled: 1-line block ×3, first 2 shown]
	v_sub_f32_e32 v28, v81, v30
	v_dual_sub_f32 v30, v26, v61 :: v_dual_sub_f32 v31, v27, v31
	s_delay_alu instid0(VALU_DEP_2) | instskip(NEXT) | instid1(VALU_DEP_2)
	v_fma_f32 v55, v81, 2.0, -v28
	v_fma_f32 v26, v26, 2.0, -v30
	s_delay_alu instid0(VALU_DEP_3)
	v_fma_f32 v27, v27, 2.0, -v31
	ds_store_2addr_b64 v64, v[45:46], v[22:23] offset1:2
	ds_store_2addr_b64 v63, v[55:56], v[28:29] offset1:2
	;; [unrolled: 1-line block ×3, first 2 shown]
	global_wb scope:SCOPE_SE
	s_wait_dscnt 0x0
	s_barrier_signal -1
	s_barrier_wait -1
	global_inv scope:SCOPE_SE
	ds_load_2addr_b64 v[26:29], v21 offset1:224
	ds_load_2addr_b64 v[55:58], v20 offset1:224
	;; [unrolled: 1-line block ×3, first 2 shown]
	global_wb scope:SCOPE_SE
	s_wait_dscnt 0x0
	s_barrier_signal -1
	s_barrier_wait -1
	global_inv scope:SCOPE_SE
	v_mul_f32_e32 v23, v48, v28
	v_mul_f32_e32 v45, v48, v58
	v_mul_f32_e32 v31, v48, v55
	v_mul_f32_e32 v30, v48, v56
	v_mul_f32_e32 v46, v48, v57
	v_fma_f32 v23, v47, v29, -v23
	v_mul_f32_e32 v22, v48, v29
	v_fma_f32 v29, v47, v56, -v31
	v_fmac_f32_e32 v45, v47, v57
	v_fmac_f32_e32 v30, v47, v55
	s_delay_alu instid0(VALU_DEP_4) | instskip(NEXT) | instid1(VALU_DEP_4)
	v_dual_sub_f32 v23, v62, v23 :: v_dual_fmac_f32 v22, v47, v28
	v_sub_f32_e32 v29, v64, v29
	v_fma_f32 v31, v47, v58, -v46
	s_delay_alu instid0(VALU_DEP_4)
	v_sub_f32_e32 v28, v63, v30
	v_sub_f32_e32 v30, v26, v45
	;; [unrolled: 1-line block ×3, first 2 shown]
	v_fma_f32 v46, v62, 2.0, -v23
	v_sub_f32_e32 v31, v27, v31
	v_fma_f32 v47, v63, 2.0, -v28
	v_fma_f32 v48, v64, 2.0, -v29
	v_fma_f32 v45, v61, 2.0, -v22
	v_fma_f32 v26, v26, 2.0, -v30
	v_fma_f32 v27, v27, 2.0, -v31
	ds_store_2addr_b64 v67, v[45:46], v[22:23] offset1:4
	ds_store_2addr_b64 v66, v[47:48], v[28:29] offset1:4
	;; [unrolled: 1-line block ×3, first 2 shown]
	global_wb scope:SCOPE_SE
	s_wait_dscnt 0x0
	s_barrier_signal -1
	s_barrier_wait -1
	global_inv scope:SCOPE_SE
	ds_load_2addr_b64 v[26:29], v21 offset1:224
	ds_load_2addr_b64 v[45:48], v20 offset1:224
	;; [unrolled: 1-line block ×3, first 2 shown]
	global_wb scope:SCOPE_SE
	s_wait_dscnt 0x0
	s_barrier_signal -1
	s_barrier_wait -1
	global_inv scope:SCOPE_SE
	v_mul_f32_e32 v23, v50, v28
	v_mul_f32_e32 v31, v50, v45
	;; [unrolled: 1-line block ×4, first 2 shown]
	s_delay_alu instid0(VALU_DEP_4) | instskip(SKIP_4) | instid1(VALU_DEP_4)
	v_fma_f32 v23, v49, v29, -v23
	v_mul_f32_e32 v22, v50, v29
	v_mul_f32_e32 v50, v50, v47
	v_fma_f32 v29, v49, v46, -v31
	v_fmac_f32_e32 v61, v49, v47
	v_dual_sub_f32 v23, v56, v23 :: v_dual_fmac_f32 v22, v49, v28
	s_delay_alu instid0(VALU_DEP_4) | instskip(NEXT) | instid1(VALU_DEP_4)
	v_fma_f32 v31, v49, v48, -v50
	v_sub_f32_e32 v29, v58, v29
	s_delay_alu instid0(VALU_DEP_3) | instskip(NEXT) | instid1(VALU_DEP_4)
	v_fma_f32 v46, v56, 2.0, -v23
	v_sub_f32_e32 v22, v55, v22
	s_delay_alu instid0(VALU_DEP_4) | instskip(NEXT) | instid1(VALU_DEP_4)
	v_dual_sub_f32 v31, v27, v31 :: v_dual_fmac_f32 v30, v49, v45
	v_fma_f32 v48, v58, 2.0, -v29
	s_delay_alu instid0(VALU_DEP_3) | instskip(NEXT) | instid1(VALU_DEP_3)
	v_fma_f32 v45, v55, 2.0, -v22
	v_fma_f32 v27, v27, 2.0, -v31
	s_delay_alu instid0(VALU_DEP_4) | instskip(SKIP_1) | instid1(VALU_DEP_2)
	v_sub_f32_e32 v28, v57, v30
	v_sub_f32_e32 v30, v26, v61
	v_fma_f32 v47, v57, 2.0, -v28
	s_delay_alu instid0(VALU_DEP_2)
	v_fma_f32 v26, v26, 2.0, -v30
	ds_store_2addr_b64 v70, v[45:46], v[22:23] offset1:8
	ds_store_2addr_b64 v69, v[47:48], v[28:29] offset1:8
	;; [unrolled: 1-line block ×3, first 2 shown]
	global_wb scope:SCOPE_SE
	s_wait_dscnt 0x0
	s_barrier_signal -1
	s_barrier_wait -1
	global_inv scope:SCOPE_SE
	ds_load_2addr_b64 v[26:29], v21 offset1:224
	ds_load_2addr_b64 v[45:48], v20 offset1:224
	;; [unrolled: 1-line block ×3, first 2 shown]
	global_wb scope:SCOPE_SE
	s_wait_dscnt 0x0
	s_barrier_signal -1
	s_barrier_wait -1
	global_inv scope:SCOPE_SE
	v_mul_f32_e32 v23, v52, v28
	v_mul_f32_e32 v31, v52, v45
	;; [unrolled: 1-line block ×5, first 2 shown]
	v_fma_f32 v23, v51, v29, -v23
	v_fma_f32 v29, v51, v46, -v31
	;; [unrolled: 1-line block ×3, first 2 shown]
	s_delay_alu instid0(VALU_DEP_4) | instskip(NEXT) | instid1(VALU_DEP_4)
	v_dual_mul_f32 v30, v52, v46 :: v_dual_fmac_f32 v49, v51, v47
	v_sub_f32_e32 v23, v56, v23
	s_delay_alu instid0(VALU_DEP_4) | instskip(NEXT) | instid1(VALU_DEP_4)
	v_sub_f32_e32 v29, v58, v29
	v_sub_f32_e32 v31, v27, v31
	v_fmac_f32_e32 v22, v51, v28
	v_fmac_f32_e32 v30, v51, v45
	v_fma_f32 v46, v56, 2.0, -v23
	v_fma_f32 v48, v58, 2.0, -v29
	;; [unrolled: 1-line block ×3, first 2 shown]
	v_sub_f32_e32 v22, v55, v22
	v_sub_f32_e32 v28, v57, v30
	;; [unrolled: 1-line block ×3, first 2 shown]
	s_delay_alu instid0(VALU_DEP_3) | instskip(NEXT) | instid1(VALU_DEP_3)
	v_fma_f32 v45, v55, 2.0, -v22
	v_fma_f32 v47, v57, 2.0, -v28
	s_delay_alu instid0(VALU_DEP_3)
	v_fma_f32 v26, v26, 2.0, -v30
	ds_store_2addr_b64 v73, v[45:46], v[22:23] offset1:16
	ds_store_2addr_b64 v72, v[47:48], v[28:29] offset1:16
	;; [unrolled: 1-line block ×3, first 2 shown]
	global_wb scope:SCOPE_SE
	s_wait_dscnt 0x0
	s_barrier_signal -1
	s_barrier_wait -1
	global_inv scope:SCOPE_SE
	ds_load_2addr_b64 v[26:29], v21 offset1:224
	ds_load_2addr_b64 v[45:48], v20 offset1:224
	ds_load_2addr_b64 v[49:52], v60 offset1:224
	global_wb scope:SCOPE_SE
	s_wait_dscnt 0x0
	s_barrier_signal -1
	s_barrier_wait -1
	global_inv scope:SCOPE_SE
	v_mul_f32_e32 v23, v54, v28
	v_mul_f32_e32 v31, v54, v45
	;; [unrolled: 1-line block ×4, first 2 shown]
	s_delay_alu instid0(VALU_DEP_4) | instskip(NEXT) | instid1(VALU_DEP_4)
	v_fma_f32 v23, v53, v29, -v23
	v_fma_f32 v29, v53, v46, -v31
	v_mul_f32_e32 v30, v54, v46
	v_mul_f32_e32 v54, v54, v47
	v_fmac_f32_e32 v22, v53, v28
	v_fmac_f32_e32 v55, v53, v47
	v_sub_f32_e32 v29, v52, v29
	v_fmac_f32_e32 v30, v53, v45
	v_fma_f32 v31, v53, v48, -v54
	v_dual_sub_f32 v22, v49, v22 :: v_dual_sub_f32 v23, v50, v23
	s_delay_alu instid0(VALU_DEP_4) | instskip(NEXT) | instid1(VALU_DEP_4)
	v_fma_f32 v48, v52, 2.0, -v29
	v_sub_f32_e32 v28, v51, v30
	v_sub_f32_e32 v30, v26, v55
	;; [unrolled: 1-line block ×3, first 2 shown]
	v_fma_f32 v45, v49, 2.0, -v22
	v_fma_f32 v46, v50, 2.0, -v23
	;; [unrolled: 1-line block ×5, first 2 shown]
	ds_store_2addr_b64 v78, v[45:46], v[22:23] offset1:32
	ds_store_2addr_b64 v77, v[47:48], v[28:29] offset1:32
	;; [unrolled: 1-line block ×3, first 2 shown]
	global_wb scope:SCOPE_SE
	s_wait_dscnt 0x0
	s_barrier_signal -1
	s_barrier_wait -1
	global_inv scope:SCOPE_SE
	ds_load_2addr_b64 v[26:29], v21 offset1:224
	ds_load_2addr_b64 v[45:48], v20 offset1:224
	;; [unrolled: 1-line block ×3, first 2 shown]
	global_wb scope:SCOPE_SE
	s_wait_dscnt 0x0
	s_barrier_signal -1
	s_barrier_wait -1
	global_inv scope:SCOPE_SE
	v_mul_f32_e32 v49, v1, v29
	v_mul_f32_e32 v1, v1, v28
	;; [unrolled: 1-line block ×5, first 2 shown]
	v_fmac_f32_e32 v49, v0, v28
	v_mul_f32_e32 v7, v7, v45
	v_fma_f32 v0, v0, v29, -v1
	v_fmac_f32_e32 v30, v4, v26
	v_fma_f32 v4, v4, v27, -v5
	v_fmac_f32_e32 v31, v6, v45
	v_fma_f32 v5, v6, v46, -v7
	v_add_f32_e32 v45, v23, v0
	v_dual_mul_f32 v50, v3, v48 :: v_dual_add_f32 v1, v20, v30
	v_dual_mul_f32 v3, v3, v47 :: v_dual_add_f32 v6, v21, v4
	v_sub_f32_e32 v27, v30, v31
	s_delay_alu instid0(VALU_DEP_3) | instskip(NEXT) | instid1(VALU_DEP_3)
	v_dual_fmac_f32 v50, v2, v47 :: v_dual_add_f32 v7, v4, v5
	v_fma_f32 v2, v2, v48, -v3
	v_dual_add_f32 v3, v30, v31 :: v_dual_sub_f32 v26, v4, v5
	s_delay_alu instid0(VALU_DEP_3) | instskip(NEXT) | instid1(VALU_DEP_3)
	v_dual_add_f32 v28, v22, v49 :: v_dual_add_f32 v29, v49, v50
	v_sub_f32_e32 v30, v0, v2
	v_add_f32_e32 v46, v0, v2
	v_dual_add_f32 v0, v1, v31 :: v_dual_add_f32 v1, v6, v5
	v_fma_f32 v5, -0.5, v7, v21
	v_fma_f32 v4, -0.5, v3, v20
	v_sub_f32_e32 v47, v49, v50
	v_fma_f32 v22, -0.5, v29, v22
	s_delay_alu instid0(VALU_DEP_4) | instskip(SKIP_2) | instid1(VALU_DEP_4)
	v_dual_add_f32 v6, v28, v50 :: v_dual_fmamk_f32 v3, v27, 0x3f5db3d7, v5
	v_fmac_f32_e32 v5, 0xbf5db3d7, v27
	v_fmac_f32_e32 v23, -0.5, v46
	v_dual_add_f32 v7, v45, v2 :: v_dual_fmamk_f32 v20, v30, 0xbf5db3d7, v22
	v_fmamk_f32 v2, v26, 0xbf5db3d7, v4
	s_delay_alu instid0(VALU_DEP_3)
	v_dual_fmac_f32 v4, 0x3f5db3d7, v26 :: v_dual_fmamk_f32 v21, v47, 0x3f5db3d7, v23
	v_fmac_f32_e32 v22, 0x3f5db3d7, v30
	v_fmac_f32_e32 v23, 0xbf5db3d7, v47
	ds_store_2addr_stride64_b64 v75, v[0:1], v[2:3] offset1:1
	ds_store_b64 v75, v[4:5] offset:1024
	ds_store_2addr_stride64_b64 v74, v[6:7], v[20:21] offset1:1
	ds_store_b64 v74, v[22:23] offset:1024
	global_wb scope:SCOPE_SE
	s_wait_dscnt 0x0
	s_barrier_signal -1
	s_barrier_wait -1
	global_inv scope:SCOPE_SE
	s_and_saveexec_b32 s0, vcc_lo
	s_cbranch_execz .LBB0_7
; %bb.6:
	ds_load_2addr_stride64_b64 v[0:3], v60 offset1:3
	ds_load_2addr_stride64_b64 v[4:7], v60 offset0:6 offset1:9
	ds_load_2addr_stride64_b64 v[20:23], v60 offset0:12 offset1:15
	ds_load_b64 v[24:25], v60 offset:9216
.LBB0_7:
	s_wait_alu 0xfffe
	s_or_b32 exec_lo, exec_lo, s0
	s_and_saveexec_b32 s0, vcc_lo
	s_cbranch_execz .LBB0_9
; %bb.8:
	s_wait_dscnt 0x1
	v_dual_mul_f32 v26, v13, v3 :: v_dual_mul_f32 v27, v11, v21
	v_dual_mul_f32 v28, v9, v7 :: v_dual_mul_f32 v29, v15, v5
	s_wait_dscnt 0x0
	v_dual_mul_f32 v30, v17, v23 :: v_dual_mul_f32 v31, v19, v25
	s_delay_alu instid0(VALU_DEP_2) | instskip(NEXT) | instid1(VALU_DEP_2)
	v_dual_fmac_f32 v27, v10, v20 :: v_dual_fmac_f32 v28, v8, v6
	v_dual_fmac_f32 v29, v14, v4 :: v_dual_fmac_f32 v30, v16, v22
	s_delay_alu instid0(VALU_DEP_3) | instskip(NEXT) | instid1(VALU_DEP_3)
	v_dual_fmac_f32 v26, v12, v2 :: v_dual_fmac_f32 v31, v18, v24
	v_sub_f32_e32 v45, v27, v28
	s_delay_alu instid0(VALU_DEP_3) | instskip(SKIP_1) | instid1(VALU_DEP_4)
	v_dual_mul_f32 v19, v19, v24 :: v_dual_sub_f32 v46, v29, v30
	v_dual_mul_f32 v17, v17, v22 :: v_dual_mul_f32 v4, v15, v4
	v_dual_sub_f32 v24, v26, v31 :: v_dual_add_f32 v15, v31, v26
	s_delay_alu instid0(VALU_DEP_3) | instskip(SKIP_2) | instid1(VALU_DEP_4)
	v_sub_f32_e32 v47, v45, v46
	v_mul_f32_e32 v2, v13, v2
	v_fma_f32 v13, v18, v25, -v19
	v_sub_f32_e32 v18, v24, v45
	v_fma_f32 v4, v14, v5, -v4
	v_mul_f32_e32 v19, 0x3f08b237, v47
	v_fma_f32 v2, v12, v3, -v2
	v_dual_mul_f32 v3, v9, v6 :: v_dual_mul_f32 v6, v11, v20
	v_fma_f32 v9, v16, v23, -v17
	v_add_f32_e32 v5, v45, v46
	v_add_f32_e32 v17, v28, v27
	s_delay_alu instid0(VALU_DEP_4) | instskip(SKIP_2) | instid1(VALU_DEP_2)
	v_fma_f32 v3, v8, v7, -v3
	v_fma_f32 v6, v10, v21, -v6
	v_dual_fmamk_f32 v10, v18, 0xbeae86e6, v19 :: v_dual_add_f32 v7, v9, v4
	v_dual_add_f32 v8, v3, v6 :: v_dual_add_f32 v5, v5, v24
	v_dual_add_f32 v11, v13, v2 :: v_dual_sub_f32 v24, v46, v24
	s_delay_alu instid0(VALU_DEP_2) | instskip(NEXT) | instid1(VALU_DEP_2)
	v_fmac_f32_e32 v10, 0xbee1c552, v5
	v_add_f32_e32 v12, v7, v11
	s_delay_alu instid0(VALU_DEP_4) | instskip(SKIP_1) | instid1(VALU_DEP_3)
	v_sub_f32_e32 v14, v11, v8
	v_sub_f32_e32 v4, v4, v9
	v_add_f32_e32 v12, v8, v12
	s_delay_alu instid0(VALU_DEP_1) | instskip(NEXT) | instid1(VALU_DEP_4)
	v_dual_add_f32 v16, v30, v29 :: v_dual_add_f32 v1, v1, v12
	v_mul_f32_e32 v14, 0x3f4a47b2, v14
	s_delay_alu instid0(VALU_DEP_2) | instskip(SKIP_4) | instid1(VALU_DEP_4)
	v_fmamk_f32 v12, v12, 0xbf955555, v1
	v_sub_f32_e32 v22, v15, v17
	v_sub_f32_e32 v8, v8, v7
	v_sub_f32_e32 v7, v7, v11
	v_sub_f32_e32 v11, v16, v15
	v_dual_mul_f32 v9, 0x3f4a47b2, v22 :: v_dual_add_f32 v20, v16, v15
	s_delay_alu instid0(VALU_DEP_4) | instskip(NEXT) | instid1(VALU_DEP_2)
	v_mul_f32_e32 v21, 0x3d64c772, v8
	v_add_f32_e32 v20, v17, v20
	v_dual_sub_f32 v17, v17, v16 :: v_dual_sub_f32 v6, v6, v3
	s_delay_alu instid0(VALU_DEP_1) | instskip(NEXT) | instid1(VALU_DEP_1)
	v_dual_fmamk_f32 v8, v8, 0x3d64c772, v14 :: v_dual_sub_f32 v3, v6, v4
	v_dual_mul_f32 v23, 0x3f08b237, v3 :: v_dual_add_f32 v0, v0, v20
	s_delay_alu instid0(VALU_DEP_1) | instskip(NEXT) | instid1(VALU_DEP_3)
	v_fmamk_f32 v20, v20, 0xbf955555, v0
	v_dual_sub_f32 v2, v2, v13 :: v_dual_add_f32 v13, v8, v12
	v_dual_fmamk_f32 v8, v17, 0x3d64c772, v9 :: v_dual_mul_f32 v17, 0x3d64c772, v17
	v_fma_f32 v9, 0xbf3bfb3b, v11, -v9
	s_delay_alu instid0(VALU_DEP_3) | instskip(NEXT) | instid1(VALU_DEP_3)
	v_add_f32_e32 v3, v10, v13
	v_dual_add_f32 v25, v8, v20 :: v_dual_sub_f32 v22, v2, v6
	v_dual_add_f32 v6, v6, v4 :: v_dual_sub_f32 v13, v13, v10
	v_mul_f32_e32 v8, 0xbf5ff5aa, v24
	v_sub_f32_e32 v4, v4, v2
	v_add_f32_e32 v16, v9, v20
	s_delay_alu instid0(VALU_DEP_4) | instskip(NEXT) | instid1(VALU_DEP_4)
	v_add_f32_e32 v2, v6, v2
	v_fma_f32 v6, 0x3eae86e6, v18, -v8
	v_fma_f32 v8, 0xbf3bfb3b, v7, -v14
	v_fma_f32 v7, 0x3f3bfb3b, v7, -v21
	v_mul_f32_e32 v14, 0xbf5ff5aa, v4
	v_fma_f32 v18, 0xbf5ff5aa, v4, -v23
	v_fma_f32 v4, 0x3f3bfb3b, v11, -v17
	v_add_f32_e32 v15, v8, v12
	v_fma_f32 v8, 0xbf5ff5aa, v24, -v19
	v_add_f32_e32 v9, v7, v12
	v_fma_f32 v14, 0x3eae86e6, v22, -v14
	v_fmac_f32_e32 v6, 0xbee1c552, v5
	v_fmac_f32_e32 v18, 0xbee1c552, v2
	;; [unrolled: 1-line block ×3, first 2 shown]
	v_fmamk_f32 v26, v22, 0xbeae86e6, v23
	v_fmac_f32_e32 v14, 0xbee1c552, v2
	v_sub_f32_e32 v11, v15, v6
	v_add_f32_e32 v5, v6, v15
	s_delay_alu instid0(VALU_DEP_4) | instskip(SKIP_3) | instid1(VALU_DEP_4)
	v_dual_sub_f32 v7, v9, v8 :: v_dual_fmac_f32 v26, 0xbee1c552, v2
	v_add_f32_e32 v2, v4, v20
	v_dual_add_f32 v9, v8, v9 :: v_dual_add_f32 v10, v14, v16
	v_sub_f32_e32 v4, v16, v14
	v_add_f32_e32 v12, v26, v25
	s_delay_alu instid0(VALU_DEP_4)
	v_sub_f32_e32 v8, v2, v18
	v_add_f32_e32 v6, v18, v2
	v_sub_f32_e32 v2, v25, v26
	ds_store_2addr_stride64_b64 v60, v[0:1], v[12:13] offset1:3
	ds_store_2addr_stride64_b64 v60, v[10:11], v[8:9] offset0:6 offset1:9
	ds_store_2addr_stride64_b64 v60, v[6:7], v[4:5] offset0:12 offset1:15
	ds_store_b64 v60, v[2:3] offset:9216
.LBB0_9:
	s_wait_alu 0xfffe
	s_or_b32 exec_lo, exec_lo, s0
	global_wb scope:SCOPE_SE
	s_wait_dscnt 0x0
	s_barrier_signal -1
	s_barrier_wait -1
	global_inv scope:SCOPE_SE
	ds_load_2addr_b64 v[0:3], v60 offset1:224
	v_add_nc_u32_e32 v4, 0xe00, v60
	v_add_nc_u32_e32 v8, 0x1c00, v60
	v_mad_co_u64_u32 v[24:25], null, s6, v32, 0
	v_mad_co_u64_u32 v[26:27], null, s4, v59, 0
	s_mov_b32 s0, 0x18618618
	s_mov_b32 s1, 0x3f486186
	s_delay_alu instid0(VALU_DEP_1)
	v_mad_co_u64_u32 v[28:29], null, s7, v32, v[25:26]
	s_wait_dscnt 0x0
	v_mul_f32_e32 v15, v44, v2
	ds_load_2addr_b64 v[4:7], v4 offset1:224
	ds_load_2addr_b64 v[8:11], v8 offset1:224
	v_mul_f32_e32 v12, v42, v1
	v_mad_co_u64_u32 v[29:30], null, s5, v59, v[27:28]
	v_dual_mul_f32 v13, v42, v0 :: v_dual_mul_f32 v14, v44, v3
	v_fma_f32 v15, v43, v3, -v15
	v_mov_b32_e32 v25, v28
	s_delay_alu instid0(VALU_DEP_3) | instskip(NEXT) | instid1(VALU_DEP_4)
	v_fma_f32 v13, v41, v1, -v13
	v_dual_fmac_f32 v14, v43, v2 :: v_dual_mov_b32 v27, v29
	s_delay_alu instid0(VALU_DEP_3) | instskip(NEXT) | instid1(VALU_DEP_3)
	v_lshlrev_b64_e32 v[24:25], 3, v[24:25]
	v_cvt_f64_f32_e32 v[2:3], v13
	s_delay_alu instid0(VALU_DEP_3) | instskip(NEXT) | instid1(VALU_DEP_3)
	v_lshlrev_b64_e32 v[26:27], 3, v[26:27]
	v_add_co_u32 v24, vcc_lo, s2, v24
	s_wait_dscnt 0x1
	v_mul_f32_e32 v21, v38, v4
	s_wait_dscnt 0x0
	v_dual_mul_f32 v23, v40, v10 :: v_dual_fmac_f32 v12, v41, v0
	v_dual_mul_f32 v16, v36, v7 :: v_dual_mul_f32 v19, v34, v8
	v_dual_mul_f32 v17, v36, v6 :: v_dual_mul_f32 v18, v34, v9
	s_mul_i32 s2, s5, 0xfffff200
	v_mul_f32_e32 v20, v38, v5
	s_wait_alu 0xfffe
	s_sub_co_i32 s2, s2, s4
	v_fmac_f32_e32 v16, v35, v6
	v_fma_f32 v17, v35, v7, -v17
	v_fmac_f32_e32 v18, v33, v8
	v_mul_f32_e32 v22, v40, v11
	v_fma_f32 v19, v33, v9, -v19
	v_cvt_f64_f32_e32 v[0:1], v12
	v_cvt_f64_f32_e32 v[6:7], v14
	;; [unrolled: 1-line block ×6, first 2 shown]
	v_fmac_f32_e32 v20, v37, v4
	v_fma_f32 v18, v37, v5, -v21
	v_fmac_f32_e32 v22, v39, v10
	v_fma_f32 v23, v39, v11, -v23
	v_cvt_f64_f32_e32 v[4:5], v19
	v_cvt_f64_f32_e32 v[10:11], v20
	;; [unrolled: 1-line block ×5, first 2 shown]
	s_wait_alu 0xfffd
	v_add_co_ci_u32_e32 v25, vcc_lo, s3, v25, vcc_lo
	v_mul_f64_e32 v[2:3], s[0:1], v[2:3]
	v_add_co_u32 v24, vcc_lo, v24, v26
	s_wait_alu 0xfffd
	s_delay_alu instid0(VALU_DEP_3)
	v_add_co_ci_u32_e32 v25, vcc_lo, v25, v27, vcc_lo
	v_mul_f64_e32 v[0:1], s[0:1], v[0:1]
	v_mul_f64_e32 v[6:7], s[0:1], v[6:7]
	;; [unrolled: 1-line block ×11, first 2 shown]
	s_mul_u64 s[0:1], s[4:5], 0x1500
	s_wait_alu 0xfffe
	v_add_co_u32 v26, vcc_lo, v24, s0
	s_wait_alu 0xfffd
	v_add_co_ci_u32_e32 v27, vcc_lo, s1, v25, vcc_lo
	v_cvt_f32_f64_e32 v0, v[0:1]
	v_cvt_f32_f64_e32 v1, v[2:3]
	;; [unrolled: 1-line block ×7, first 2 shown]
	v_mad_co_u64_u32 v[12:13], null, 0xfffff200, s4, v[26:27]
	v_cvt_f32_f64_e32 v9, v[4:5]
	v_cvt_f32_f64_e32 v4, v[10:11]
	;; [unrolled: 1-line block ×5, first 2 shown]
	v_add_nc_u32_e32 v13, s2, v13
	v_add_co_u32 v14, vcc_lo, v12, s0
	s_wait_alu 0xfffd
	s_delay_alu instid0(VALU_DEP_2) | instskip(NEXT) | instid1(VALU_DEP_1)
	v_add_co_ci_u32_e32 v15, vcc_lo, s1, v13, vcc_lo
	v_mad_co_u64_u32 v[16:17], null, 0xfffff200, s4, v[14:15]
	s_delay_alu instid0(VALU_DEP_1) | instskip(NEXT) | instid1(VALU_DEP_2)
	v_add_nc_u32_e32 v17, s2, v17
	v_add_co_u32 v18, vcc_lo, v16, s0
	s_wait_alu 0xfffd
	s_delay_alu instid0(VALU_DEP_2)
	v_add_co_ci_u32_e32 v19, vcc_lo, s1, v17, vcc_lo
	s_clause 0x4
	global_store_b64 v[24:25], v[0:1], off
	global_store_b64 v[26:27], v[6:7], off
	;; [unrolled: 1-line block ×6, first 2 shown]
.LBB0_10:
	s_nop 0
	s_sendmsg sendmsg(MSG_DEALLOC_VGPRS)
	s_endpgm
	.section	.rodata,"a",@progbits
	.p2align	6, 0x0
	.amdhsa_kernel bluestein_single_fwd_len1344_dim1_sp_op_CI_CI
		.amdhsa_group_segment_fixed_size 10752
		.amdhsa_private_segment_fixed_size 0
		.amdhsa_kernarg_size 104
		.amdhsa_user_sgpr_count 2
		.amdhsa_user_sgpr_dispatch_ptr 0
		.amdhsa_user_sgpr_queue_ptr 0
		.amdhsa_user_sgpr_kernarg_segment_ptr 1
		.amdhsa_user_sgpr_dispatch_id 0
		.amdhsa_user_sgpr_private_segment_size 0
		.amdhsa_wavefront_size32 1
		.amdhsa_uses_dynamic_stack 0
		.amdhsa_enable_private_segment 0
		.amdhsa_system_sgpr_workgroup_id_x 1
		.amdhsa_system_sgpr_workgroup_id_y 0
		.amdhsa_system_sgpr_workgroup_id_z 0
		.amdhsa_system_sgpr_workgroup_info 0
		.amdhsa_system_vgpr_workitem_id 0
		.amdhsa_next_free_vgpr 97
		.amdhsa_next_free_sgpr 16
		.amdhsa_reserve_vcc 1
		.amdhsa_float_round_mode_32 0
		.amdhsa_float_round_mode_16_64 0
		.amdhsa_float_denorm_mode_32 3
		.amdhsa_float_denorm_mode_16_64 3
		.amdhsa_fp16_overflow 0
		.amdhsa_workgroup_processor_mode 1
		.amdhsa_memory_ordered 1
		.amdhsa_forward_progress 0
		.amdhsa_round_robin_scheduling 0
		.amdhsa_exception_fp_ieee_invalid_op 0
		.amdhsa_exception_fp_denorm_src 0
		.amdhsa_exception_fp_ieee_div_zero 0
		.amdhsa_exception_fp_ieee_overflow 0
		.amdhsa_exception_fp_ieee_underflow 0
		.amdhsa_exception_fp_ieee_inexact 0
		.amdhsa_exception_int_div_zero 0
	.end_amdhsa_kernel
	.text
.Lfunc_end0:
	.size	bluestein_single_fwd_len1344_dim1_sp_op_CI_CI, .Lfunc_end0-bluestein_single_fwd_len1344_dim1_sp_op_CI_CI
                                        ; -- End function
	.section	.AMDGPU.csdata,"",@progbits
; Kernel info:
; codeLenInByte = 7708
; NumSgprs: 18
; NumVgprs: 97
; ScratchSize: 0
; MemoryBound: 0
; FloatMode: 240
; IeeeMode: 1
; LDSByteSize: 10752 bytes/workgroup (compile time only)
; SGPRBlocks: 2
; VGPRBlocks: 12
; NumSGPRsForWavesPerEU: 18
; NumVGPRsForWavesPerEU: 97
; Occupancy: 12
; WaveLimiterHint : 1
; COMPUTE_PGM_RSRC2:SCRATCH_EN: 0
; COMPUTE_PGM_RSRC2:USER_SGPR: 2
; COMPUTE_PGM_RSRC2:TRAP_HANDLER: 0
; COMPUTE_PGM_RSRC2:TGID_X_EN: 1
; COMPUTE_PGM_RSRC2:TGID_Y_EN: 0
; COMPUTE_PGM_RSRC2:TGID_Z_EN: 0
; COMPUTE_PGM_RSRC2:TIDIG_COMP_CNT: 0
	.text
	.p2alignl 7, 3214868480
	.fill 96, 4, 3214868480
	.type	__hip_cuid_efd68bf5ee37036f,@object ; @__hip_cuid_efd68bf5ee37036f
	.section	.bss,"aw",@nobits
	.globl	__hip_cuid_efd68bf5ee37036f
__hip_cuid_efd68bf5ee37036f:
	.byte	0                               ; 0x0
	.size	__hip_cuid_efd68bf5ee37036f, 1

	.ident	"AMD clang version 19.0.0git (https://github.com/RadeonOpenCompute/llvm-project roc-6.4.0 25133 c7fe45cf4b819c5991fe208aaa96edf142730f1d)"
	.section	".note.GNU-stack","",@progbits
	.addrsig
	.addrsig_sym __hip_cuid_efd68bf5ee37036f
	.amdgpu_metadata
---
amdhsa.kernels:
  - .args:
      - .actual_access:  read_only
        .address_space:  global
        .offset:         0
        .size:           8
        .value_kind:     global_buffer
      - .actual_access:  read_only
        .address_space:  global
        .offset:         8
        .size:           8
        .value_kind:     global_buffer
      - .actual_access:  read_only
        .address_space:  global
        .offset:         16
        .size:           8
        .value_kind:     global_buffer
      - .actual_access:  read_only
        .address_space:  global
        .offset:         24
        .size:           8
        .value_kind:     global_buffer
      - .actual_access:  read_only
        .address_space:  global
        .offset:         32
        .size:           8
        .value_kind:     global_buffer
      - .offset:         40
        .size:           8
        .value_kind:     by_value
      - .address_space:  global
        .offset:         48
        .size:           8
        .value_kind:     global_buffer
      - .address_space:  global
        .offset:         56
        .size:           8
        .value_kind:     global_buffer
      - .address_space:  global
        .offset:         64
        .size:           8
        .value_kind:     global_buffer
      - .address_space:  global
        .offset:         72
        .size:           8
        .value_kind:     global_buffer
      - .offset:         80
        .size:           4
        .value_kind:     by_value
      - .address_space:  global
        .offset:         88
        .size:           8
        .value_kind:     global_buffer
      - .address_space:  global
        .offset:         96
        .size:           8
        .value_kind:     global_buffer
    .group_segment_fixed_size: 10752
    .kernarg_segment_align: 8
    .kernarg_segment_size: 104
    .language:       OpenCL C
    .language_version:
      - 2
      - 0
    .max_flat_workgroup_size: 224
    .name:           bluestein_single_fwd_len1344_dim1_sp_op_CI_CI
    .private_segment_fixed_size: 0
    .sgpr_count:     18
    .sgpr_spill_count: 0
    .symbol:         bluestein_single_fwd_len1344_dim1_sp_op_CI_CI.kd
    .uniform_work_group_size: 1
    .uses_dynamic_stack: false
    .vgpr_count:     97
    .vgpr_spill_count: 0
    .wavefront_size: 32
    .workgroup_processor_mode: 1
amdhsa.target:   amdgcn-amd-amdhsa--gfx1201
amdhsa.version:
  - 1
  - 2
...

	.end_amdgpu_metadata
